;; amdgpu-corpus repo=zjin-lcf/HeCBench kind=compiled arch=gfx1250 opt=O3
	.amdgcn_target "amdgcn-amd-amdhsa--gfx1250"
	.amdhsa_code_object_version 6
	.text
	.protected	_Z15init_rand_statejPj  ; -- Begin function _Z15init_rand_statejPj
	.globl	_Z15init_rand_statejPj
	.p2align	8
	.type	_Z15init_rand_statejPj,@function
_Z15init_rand_statejPj:                 ; @_Z15init_rand_statejPj
; %bb.0:
	s_clause 0x1
	s_load_b32 s2, s[0:1], 0x1c
	s_load_b32 s5, s[0:1], 0x0
	s_bfe_u32 s4, ttmp6, 0x4000c
	s_and_b32 s3, ttmp6, 15
	s_add_co_i32 s4, s4, 1
	s_getreg_b32 s6, hwreg(HW_REG_IB_STS2, 6, 4)
	s_mul_i32 s4, ttmp9, s4
	s_wait_xcnt 0x0
	s_load_b64 s[0:1], s[0:1], 0x8
	s_add_co_i32 s3, s3, s4
	s_wait_kmcnt 0x0
	s_and_b32 s2, s2, 0xffff
	s_cmp_eq_u32 s6, 0
	s_cselect_b32 s3, ttmp9, s3
	s_delay_alu instid0(SALU_CYCLE_1) | instskip(NEXT) | instid1(VALU_DEP_1)
	v_mad_u32 v0, s3, s2, v0
	v_xor_b32_e32 v1, s5, v0
	s_delay_alu instid0(VALU_DEP_1) | instskip(NEXT) | instid1(VALU_DEP_1)
	v_mad_u32 v1, 0x1984a2d, v1, 1
	v_and_b32_e32 v1, 0x7fffffff, v1
	global_store_b32 v0, v1, s[0:1] scale_offset
	s_endpgm
	.section	.rodata,"a",@progbits
	.p2align	6, 0x0
	.amdhsa_kernel _Z15init_rand_statejPj
		.amdhsa_group_segment_fixed_size 0
		.amdhsa_private_segment_fixed_size 0
		.amdhsa_kernarg_size 272
		.amdhsa_user_sgpr_count 2
		.amdhsa_user_sgpr_dispatch_ptr 0
		.amdhsa_user_sgpr_queue_ptr 0
		.amdhsa_user_sgpr_kernarg_segment_ptr 1
		.amdhsa_user_sgpr_dispatch_id 0
		.amdhsa_user_sgpr_kernarg_preload_length 0
		.amdhsa_user_sgpr_kernarg_preload_offset 0
		.amdhsa_user_sgpr_private_segment_size 0
		.amdhsa_wavefront_size32 1
		.amdhsa_uses_dynamic_stack 0
		.amdhsa_enable_private_segment 0
		.amdhsa_system_sgpr_workgroup_id_x 1
		.amdhsa_system_sgpr_workgroup_id_y 0
		.amdhsa_system_sgpr_workgroup_id_z 0
		.amdhsa_system_sgpr_workgroup_info 0
		.amdhsa_system_vgpr_workitem_id 0
		.amdhsa_next_free_vgpr 2
		.amdhsa_next_free_sgpr 7
		.amdhsa_named_barrier_count 0
		.amdhsa_reserve_vcc 0
		.amdhsa_float_round_mode_32 0
		.amdhsa_float_round_mode_16_64 0
		.amdhsa_float_denorm_mode_32 3
		.amdhsa_float_denorm_mode_16_64 3
		.amdhsa_fp16_overflow 0
		.amdhsa_memory_ordered 1
		.amdhsa_forward_progress 1
		.amdhsa_inst_pref_size 2
		.amdhsa_round_robin_scheduling 0
		.amdhsa_exception_fp_ieee_invalid_op 0
		.amdhsa_exception_fp_denorm_src 0
		.amdhsa_exception_fp_ieee_div_zero 0
		.amdhsa_exception_fp_ieee_overflow 0
		.amdhsa_exception_fp_ieee_underflow 0
		.amdhsa_exception_fp_ieee_inexact 0
		.amdhsa_exception_int_div_zero 0
	.end_amdhsa_kernel
	.text
.Lfunc_end0:
	.size	_Z15init_rand_statejPj, .Lfunc_end0-_Z15init_rand_statejPj
                                        ; -- End function
	.set _Z15init_rand_statejPj.num_vgpr, 2
	.set _Z15init_rand_statejPj.num_agpr, 0
	.set _Z15init_rand_statejPj.numbered_sgpr, 7
	.set _Z15init_rand_statejPj.num_named_barrier, 0
	.set _Z15init_rand_statejPj.private_seg_size, 0
	.set _Z15init_rand_statejPj.uses_vcc, 0
	.set _Z15init_rand_statejPj.uses_flat_scratch, 0
	.set _Z15init_rand_statejPj.has_dyn_sized_stack, 0
	.set _Z15init_rand_statejPj.has_recursion, 0
	.set _Z15init_rand_statejPj.has_indirect_call, 0
	.section	.AMDGPU.csdata,"",@progbits
; Kernel info:
; codeLenInByte = 136
; TotalNumSgprs: 7
; NumVgprs: 2
; ScratchSize: 0
; MemoryBound: 0
; FloatMode: 240
; IeeeMode: 1
; LDSByteSize: 0 bytes/workgroup (compile time only)
; SGPRBlocks: 0
; VGPRBlocks: 0
; NumSGPRsForWavesPerEU: 7
; NumVGPRsForWavesPerEU: 2
; NamedBarCnt: 0
; Occupancy: 16
; WaveLimiterHint : 0
; COMPUTE_PGM_RSRC2:SCRATCH_EN: 0
; COMPUTE_PGM_RSRC2:USER_SGPR: 2
; COMPUTE_PGM_RSRC2:TRAP_HANDLER: 0
; COMPUTE_PGM_RSRC2:TGID_X_EN: 1
; COMPUTE_PGM_RSRC2:TGID_Y_EN: 0
; COMPUTE_PGM_RSRC2:TGID_Z_EN: 0
; COMPUTE_PGM_RSRC2:TIDIG_COMP_CNT: 0
	.text
	.protected	_Z11random_initPjiP6__halfxxf ; -- Begin function _Z11random_initPjiP6__halfxxf
	.globl	_Z11random_initPjiP6__halfxxf
	.p2align	8
	.type	_Z11random_initPjiP6__halfxxf,@function
_Z11random_initPjiP6__halfxxf:          ; @_Z11random_initPjiP6__halfxxf
; %bb.0:
	s_load_b64 s[2:3], s[0:1], 0x18
	s_wait_kmcnt 0x0
	v_cmp_lt_i64_e64 s4, s[2:3], 1
	s_and_b32 vcc_lo, exec_lo, s4
	s_cbranch_vccnz .LBB1_5
; %bb.1:
	s_clause 0x1
	s_load_b32 s7, s[0:1], 0x3c
	s_load_b96 s[4:6], s[0:1], 0x0
	s_bfe_u32 s8, ttmp6, 0x4000c
	s_and_b32 s9, ttmp6, 15
	s_add_co_i32 s8, s8, 1
	s_getreg_b32 s10, hwreg(HW_REG_IB_STS2, 6, 4)
	s_mul_i32 s8, ttmp9, s8
	s_delay_alu instid0(SALU_CYCLE_1)
	s_add_co_i32 s11, s9, s8
	s_wait_kmcnt 0x0
	s_and_b32 s12, s7, 0xffff
	s_cmp_eq_u32 s10, 0
	s_clause 0x2
	s_load_b64 s[8:9], s[0:1], 0x10
	s_load_b32 s7, s[0:1], 0x28
	s_load_b32 s10, s[0:1], 0x30
	s_wait_xcnt 0x0
	s_cselect_b32 s0, ttmp9, s11
	s_abs_i32 s1, s6
	v_mad_u32 v4, s0, s12, v0
	s_cvt_f32_u32 s6, s1
	s_delay_alu instid0(SALU_CYCLE_3) | instskip(SKIP_1) | instid1(VALU_DEP_1)
	v_rcp_iflag_f32_e32 v1, s6
	s_sub_co_i32 s6, 0, s1
	v_dual_sub_nc_u32 v0, 0, v4 :: v_dual_ashrrev_i32 v2, 31, v4
	s_delay_alu instid0(TRANS32_DEP_1) | instskip(NEXT) | instid1(VALU_DEP_2)
	v_readfirstlane_b32 s0, v1
	v_max_i32_e32 v0, v4, v0
	s_mul_f32 s0, s0, 0x4f7ffffe
	s_delay_alu instid0(SALU_CYCLE_3) | instskip(NEXT) | instid1(SALU_CYCLE_3)
	s_cvt_u32_f32 s0, s0
	s_mul_i32 s6, s6, s0
	s_delay_alu instid0(SALU_CYCLE_1) | instskip(NEXT) | instid1(SALU_CYCLE_1)
	s_mul_hi_u32 s6, s0, s6
	s_add_co_i32 s0, s0, s6
                                        ; implicit-def: $sgpr6
	s_delay_alu instid0(SALU_CYCLE_1) | instskip(SKIP_1) | instid1(VALU_DEP_1)
	v_mul_hi_u32 v1, v0, s0
	s_mov_b32 s0, 0
	v_mul_lo_u32 v1, v1, s1
	s_delay_alu instid0(VALU_DEP_1) | instskip(NEXT) | instid1(VALU_DEP_1)
	v_sub_nc_u32_e32 v0, v0, v1
	v_subrev_nc_u32_e32 v1, s1, v0
	v_cmp_le_u32_e32 vcc_lo, s1, v0
	s_delay_alu instid0(VALU_DEP_2) | instskip(NEXT) | instid1(VALU_DEP_1)
	v_cndmask_b32_e32 v0, v0, v1, vcc_lo
	v_subrev_nc_u32_e32 v1, s1, v0
	v_cmp_le_u32_e32 vcc_lo, s1, v0
	s_delay_alu instid0(VALU_DEP_2) | instskip(NEXT) | instid1(VALU_DEP_1)
	v_cndmask_b32_e32 v0, v0, v1, vcc_lo
	v_xor_b32_e32 v0, v0, v2
	s_delay_alu instid0(VALU_DEP_1) | instskip(NEXT) | instid1(VALU_DEP_1)
	v_sub_nc_u32_e32 v0, v0, v2
	v_ashrrev_i32_e32 v1, 31, v0
	s_delay_alu instid0(VALU_DEP_1)
	v_lshl_add_u64 v[0:1], v[0:1], 2, s[4:5]
	s_mov_b32 s4, 0
	s_wait_kmcnt 0x0
	s_mul_i32 s5, s10, s12
	s_branch .LBB1_3
.LBB1_2:                                ;   in Loop: Header=BB1_3 Depth=1
	s_wait_xcnt 0x0
	s_or_b32 exec_lo, exec_lo, s10
	s_delay_alu instid0(SALU_CYCLE_1) | instskip(NEXT) | instid1(SALU_CYCLE_1)
	s_and_b32 s1, exec_lo, s6
	s_or_b32 s4, s1, s4
	s_delay_alu instid0(SALU_CYCLE_1)
	s_and_not1_b32 exec_lo, exec_lo, s4
	s_cbranch_execz .LBB1_5
.LBB1_3:                                ; =>This Inner Loop Header: Depth=1
	v_add_nc_u32_e32 v2, s0, v4
	s_or_b32 s6, s6, exec_lo
	s_mov_b32 s10, exec_lo
	s_delay_alu instid0(VALU_DEP_1) | instskip(NEXT) | instid1(VALU_DEP_1)
	v_ashrrev_i32_e32 v3, 31, v2
	v_cmpx_gt_i64_e64 s[2:3], v[2:3]
	s_cbranch_execz .LBB1_2
; %bb.4:                                ;   in Loop: Header=BB1_3 Depth=1
	global_load_b32 v5, v[0:1], off
	s_add_co_i32 s0, s0, s5
	v_lshl_add_u64 v[2:3], v[2:3], 1, s[8:9]
	s_ashr_i32 s1, s0, 31
	s_and_not1_b32 s6, s6, exec_lo
	v_cmp_le_i64_e64 s1, s[2:3], s[0:1]
	s_and_b32 s1, s1, exec_lo
	s_delay_alu instid0(SALU_CYCLE_1) | instskip(SKIP_2) | instid1(VALU_DEP_1)
	s_or_b32 s6, s6, s1
	s_wait_loadcnt 0x0
	v_mad_u32 v5, 0x1984a2d, v5, 1
	v_and_b32_e32 v5, 0x7fffffff, v5
	s_delay_alu instid0(VALU_DEP_1) | instskip(SKIP_2) | instid1(VALU_DEP_1)
	v_cvt_f32_u32_e32 v6, v5
	global_store_b32 v[0:1], v5, off
	v_mul_f32_e32 v6, 0x30000000, v6
	v_fma_mixlo_f16 v6, s7, v6, 0
	global_store_b16 v[2:3], v6, off
	s_branch .LBB1_2
.LBB1_5:
	s_endpgm
	.section	.rodata,"a",@progbits
	.p2align	6, 0x0
	.amdhsa_kernel _Z11random_initPjiP6__halfxxf
		.amdhsa_group_segment_fixed_size 0
		.amdhsa_private_segment_fixed_size 0
		.amdhsa_kernarg_size 304
		.amdhsa_user_sgpr_count 2
		.amdhsa_user_sgpr_dispatch_ptr 0
		.amdhsa_user_sgpr_queue_ptr 0
		.amdhsa_user_sgpr_kernarg_segment_ptr 1
		.amdhsa_user_sgpr_dispatch_id 0
		.amdhsa_user_sgpr_kernarg_preload_length 0
		.amdhsa_user_sgpr_kernarg_preload_offset 0
		.amdhsa_user_sgpr_private_segment_size 0
		.amdhsa_wavefront_size32 1
		.amdhsa_uses_dynamic_stack 0
		.amdhsa_enable_private_segment 0
		.amdhsa_system_sgpr_workgroup_id_x 1
		.amdhsa_system_sgpr_workgroup_id_y 0
		.amdhsa_system_sgpr_workgroup_id_z 0
		.amdhsa_system_sgpr_workgroup_info 0
		.amdhsa_system_vgpr_workitem_id 0
		.amdhsa_next_free_vgpr 7
		.amdhsa_next_free_sgpr 13
		.amdhsa_named_barrier_count 0
		.amdhsa_reserve_vcc 1
		.amdhsa_float_round_mode_32 0
		.amdhsa_float_round_mode_16_64 0
		.amdhsa_float_denorm_mode_32 3
		.amdhsa_float_denorm_mode_16_64 3
		.amdhsa_fp16_overflow 0
		.amdhsa_memory_ordered 1
		.amdhsa_forward_progress 1
		.amdhsa_inst_pref_size 5
		.amdhsa_round_robin_scheduling 0
		.amdhsa_exception_fp_ieee_invalid_op 0
		.amdhsa_exception_fp_denorm_src 0
		.amdhsa_exception_fp_ieee_div_zero 0
		.amdhsa_exception_fp_ieee_overflow 0
		.amdhsa_exception_fp_ieee_underflow 0
		.amdhsa_exception_fp_ieee_inexact 0
		.amdhsa_exception_int_div_zero 0
	.end_amdhsa_kernel
	.text
.Lfunc_end1:
	.size	_Z11random_initPjiP6__halfxxf, .Lfunc_end1-_Z11random_initPjiP6__halfxxf
                                        ; -- End function
	.set _Z11random_initPjiP6__halfxxf.num_vgpr, 7
	.set _Z11random_initPjiP6__halfxxf.num_agpr, 0
	.set _Z11random_initPjiP6__halfxxf.numbered_sgpr, 13
	.set _Z11random_initPjiP6__halfxxf.num_named_barrier, 0
	.set _Z11random_initPjiP6__halfxxf.private_seg_size, 0
	.set _Z11random_initPjiP6__halfxxf.uses_vcc, 1
	.set _Z11random_initPjiP6__halfxxf.uses_flat_scratch, 0
	.set _Z11random_initPjiP6__halfxxf.has_dyn_sized_stack, 0
	.set _Z11random_initPjiP6__halfxxf.has_recursion, 0
	.set _Z11random_initPjiP6__halfxxf.has_indirect_call, 0
	.section	.AMDGPU.csdata,"",@progbits
; Kernel info:
; codeLenInByte = 520
; TotalNumSgprs: 15
; NumVgprs: 7
; ScratchSize: 0
; MemoryBound: 0
; FloatMode: 240
; IeeeMode: 1
; LDSByteSize: 0 bytes/workgroup (compile time only)
; SGPRBlocks: 0
; VGPRBlocks: 0
; NumSGPRsForWavesPerEU: 15
; NumVGPRsForWavesPerEU: 7
; NamedBarCnt: 0
; Occupancy: 16
; WaveLimiterHint : 0
; COMPUTE_PGM_RSRC2:SCRATCH_EN: 0
; COMPUTE_PGM_RSRC2:USER_SGPR: 2
; COMPUTE_PGM_RSRC2:TRAP_HANDLER: 0
; COMPUTE_PGM_RSRC2:TGID_X_EN: 1
; COMPUTE_PGM_RSRC2:TGID_Y_EN: 0
; COMPUTE_PGM_RSRC2:TGID_Z_EN: 0
; COMPUTE_PGM_RSRC2:TIDIG_COMP_CNT: 0
	.text
	.protected	_Z36sgd_k128_kernel_hogwild_warp32_lratePK7mf_nodexP6__halfS3_PjPKfxxiiiiiiffiiii ; -- Begin function _Z36sgd_k128_kernel_hogwild_warp32_lratePK7mf_nodexP6__halfS3_PjPKfxxiiiiiiffiiii
	.globl	_Z36sgd_k128_kernel_hogwild_warp32_lratePK7mf_nodexP6__halfS3_PjPKfxxiiiiiiffiiii
	.p2align	8
	.type	_Z36sgd_k128_kernel_hogwild_warp32_lratePK7mf_nodexP6__halfS3_PjPKfxxiiiiiiffiiii,@function
_Z36sgd_k128_kernel_hogwild_warp32_lratePK7mf_nodexP6__halfS3_PjPKfxxiiiiiiffiiii: ; @_Z36sgd_k128_kernel_hogwild_warp32_lratePK7mf_nodexP6__halfS3_PjPKfxxiiiiiiffiiii
; %bb.0:
	s_load_b96 s[20:22], s[0:1], 0x40
	s_wait_kmcnt 0x0
	s_cmp_lt_i32 s21, 1
	s_cbranch_scc1 .LBB2_19
; %bb.1:
	s_clause 0x1
	s_load_b128 s[12:15], s[0:1], 0x50
	s_load_b256 s[4:11], s[0:1], 0x0
	s_add_co_i32 s21, s22, s21
	s_getreg_b32 s3, hwreg(HW_REG_IB_STS2, 6, 4)
	v_mbcnt_lo_u32_b32 v10, -1, 0
	v_and_b32_e32 v8, 31, v0
	s_delay_alu instid0(VALU_DEP_2)
	v_lshl_or_b32 v11, v10, 2, 64
	s_wait_kmcnt 0x0
	s_cmp_gt_i32 s12, 0
	v_cvt_f32_u32_e32 v1, s6
	s_cselect_b32 s28, -1, 0
	s_bfe_u32 s2, ttmp6, 0x4000c
	s_and_b32 s16, ttmp6, 15
	s_add_co_i32 s2, s2, 1
	v_rcp_iflag_f32_e32 v1, v1
	s_mul_i32 s2, ttmp9, s2
	s_delay_alu instid0(SALU_CYCLE_1)
	s_add_co_i32 s16, s16, s2
	s_cmp_eq_u32 s3, 0
	s_cls_i32 s2, s7
	s_cselect_b32 s3, ttmp9, s16
	s_xor_b32 s16, s6, s7
	s_add_co_i32 s2, s2, -1
	s_ashr_i32 s16, s16, 31
	v_nop
	v_mul_f32_e32 v1, 0x4f7ffffe, v1
	s_add_co_i32 s16, s16, 32
	s_delay_alu instid0(SALU_CYCLE_1)
	s_min_u32 s2, s2, s16
	s_load_b128 s[16:19], s[0:1], 0x20
	s_wait_xcnt 0x0
	s_lshl_b64 s[0:1], s[6:7], s2
	v_cvt_u32_f32_e32 v4, v1
	s_min_u32 s0, s0, 1
	s_sub_co_i32 s2, 32, s2
	s_or_b32 s0, s1, s0
	s_cmp_gt_i32 s13, 0
	v_lshrrev_b32_e32 v1, 5, v0
	s_cselect_b32 s29, -1, 0
	s_sub_co_i32 s1, 0, s6
	s_ashr_i32 s24, s7, 31
	v_mul_lo_u32 v5, s1, v4
	v_lshl_add_u32 v2, s3, 2, v1
	s_cvt_f32_i32 s1, s0
	v_cmp_eq_u32_e64 s0, 0, v8
	s_delay_alu instid0(SALU_CYCLE_2) | instskip(SKIP_2) | instid1(VALU_DEP_1)
	v_ldexp_f32 v9, s1, s2
	s_mov_b64 s[2:3], 0xffffffff
	v_mul_hi_u32 v5, v4, v5
	v_dual_ashrrev_i32 v3, 31, v2 :: v_dual_add_nc_u32 v12, v4, v5
	s_wait_kmcnt 0x0
	s_delay_alu instid0(VALU_DEP_1)
	v_lshl_add_u64 v[0:1], v[2:3], 2, s[16:17]
	v_mov_b32_e32 v2, 0
	s_mov_b32 s17, 0
	s_branch .LBB2_3
.LBB2_2:                                ;   in Loop: Header=BB2_3 Depth=1
	s_add_co_i32 s22, s22, 1
	s_delay_alu instid0(SALU_CYCLE_1)
	s_cmp_ge_i32 s22, s21
	s_cbranch_scc1 .LBB2_19
.LBB2_3:                                ; =>This Loop Header: Depth=1
                                        ;     Child Loop BB2_6 Depth 2
                                        ;       Child Loop BB2_15 Depth 3
	s_and_not1_b32 vcc_lo, exec_lo, s28
	s_cbranch_vccnz .LBB2_2
; %bb.4:                                ;   in Loop: Header=BB2_3 Depth=1
	v_cmp_gt_u32_e32 vcc_lo, 24, v10
	s_wait_kmcnt 0x0
	s_ashr_i32 s23, s22, 31
	s_mov_b32 s30, 0
	s_lshl_b64 s[26:27], s[22:23], 2
	s_delay_alu instid0(SALU_CYCLE_1) | instskip(SKIP_3) | instid1(VALU_DEP_2)
	s_add_nc_u64 s[26:27], s[18:19], s[26:27]
	v_cndmask_b32_e64 v3, 0, 8, vcc_lo
	v_cmp_gt_u32_e32 vcc_lo, 28, v10
	s_load_b32 s23, s[26:27], 0x0
	v_add_lshl_u32 v13, v3, v10, 2
	s_wait_dscnt 0x1
	v_cndmask_b32_e64 v4, 0, 4, vcc_lo
	v_cmp_gt_u32_e32 vcc_lo, 30, v10
	s_delay_alu instid0(VALU_DEP_2) | instskip(SKIP_3) | instid1(VALU_DEP_2)
	v_add_lshl_u32 v14, v4, v10, 2
	s_wait_dscnt 0x0
	v_cndmask_b32_e64 v5, 0, 2, vcc_lo
	v_cmp_ne_u32_e32 vcc_lo, 31, v10
	v_add_lshl_u32 v15, v5, v10, 2
	v_add_co_ci_u32_e64 v6, null, 0, v10, vcc_lo
	s_delay_alu instid0(VALU_DEP_1)
	v_lshlrev_b32_e32 v16, 2, v6
	s_branch .LBB2_6
.LBB2_5:                                ;   in Loop: Header=BB2_6 Depth=2
	s_add_co_i32 s30, s30, 1
	s_delay_alu instid0(SALU_CYCLE_1)
	s_cmp_eq_u32 s30, s12
	s_cbranch_scc1 .LBB2_2
.LBB2_6:                                ;   Parent Loop BB2_3 Depth=1
                                        ; =>  This Loop Header: Depth=2
                                        ;       Child Loop BB2_15 Depth 3
	s_wait_xcnt 0x0
	v_mov_b64_e32 v[6:7], 0
	s_and_saveexec_b32 s31, s0
	s_cbranch_execz .LBB2_12
; %bb.7:                                ;   in Loop: Header=BB2_6 Depth=2
	global_load_b32 v3, v[0:1], off
	s_mov_b32 s1, exec_lo
	s_wait_loadcnt 0x0
	v_mad_u32 v3, 0x1984a2d, v3, 1
	s_delay_alu instid0(VALU_DEP_1) | instskip(NEXT) | instid1(VALU_DEP_1)
	v_and_b32_e32 v17, 0x7fffffff, v3
	v_cvt_f32_u32_e32 v3, v17
	global_store_b32 v[0:1], v17, off
	v_mul_f32_e32 v3, 0x30000000, v3
	s_delay_alu instid0(VALU_DEP_1) | instskip(NEXT) | instid1(VALU_DEP_1)
	v_mul_f32_e32 v3, v3, v9
	v_trunc_f32_e32 v3, v3
	s_wait_dscnt 0x1
	s_delay_alu instid0(VALU_DEP_1) | instskip(SKIP_1) | instid1(VALU_DEP_1)
	v_mul_f32_e64 v4, 0x2f800000, |v3|
	s_wait_dscnt 0x0
	v_floor_f32_e32 v5, v4
	v_ashrrev_i32_e32 v4, 31, v3
	s_delay_alu instid0(VALU_DEP_2) | instskip(SKIP_1) | instid1(VALU_DEP_3)
	v_fma_f32 v6, 0xcf800000, v5, |v3|
	v_cvt_u32_f32_e32 v3, v5
	v_mov_b32_e32 v5, v4
	s_delay_alu instid0(VALU_DEP_3) | instskip(NEXT) | instid1(VALU_DEP_3)
	v_cvt_u32_f32_e32 v6, v6
	v_xor_b32_e32 v7, v3, v4
	s_delay_alu instid0(VALU_DEP_2) | instskip(NEXT) | instid1(VALU_DEP_1)
	v_xor_b32_e32 v6, v6, v4
	v_sub_nc_u64_e32 v[4:5], v[6:7], v[4:5]
                                        ; implicit-def: $vgpr6_vgpr7
	s_delay_alu instid0(VALU_DEP_1) | instskip(SKIP_1) | instid1(VALU_DEP_1)
	v_or_b32_e32 v3, s7, v5
	s_wait_xcnt 0x0
	v_cmpx_ne_u64_e32 0, v[2:3]
	s_xor_b32 s33, exec_lo, s1
	s_cbranch_execz .LBB2_9
; %bb.8:                                ;   in Loop: Header=BB2_6 Depth=2
	s_mov_b32 s25, s24
	v_dual_mov_b32 v19, v2 :: v_dual_ashrrev_i32 v6, 31, v5
	s_add_nc_u64 s[26:27], s[6:7], s[24:25]
	v_mov_b32_e32 v27, v2
	s_xor_b64 s[26:27], s[26:27], s[24:25]
	s_delay_alu instid0(VALU_DEP_2) | instskip(SKIP_3) | instid1(VALU_DEP_1)
	v_mov_b32_e32 v7, v6
	s_cvt_f32_u32 s1, s26
	s_cvt_f32_u32 s16, s27
	s_sub_nc_u64 s[36:37], 0, s[26:27]
	v_add_nc_u64_e32 v[4:5], v[4:5], v[6:7]
	s_delay_alu instid0(SALU_CYCLE_1) | instskip(SKIP_1) | instid1(SALU_CYCLE_2)
	s_fmamk_f32 s1, s16, 0x4f800000, s1
	v_mov_b32_e32 v23, v2
	v_s_rcp_f32 s1, s1
	s_delay_alu instid0(VALU_DEP_2) | instskip(NEXT) | instid1(VALU_DEP_3)
	v_xor_b32_e32 v18, v4, v6
	v_xor_b32_e32 v22, v5, v6
	s_delay_alu instid0(TRANS32_DEP_1) | instskip(NEXT) | instid1(SALU_CYCLE_3)
	s_mul_f32 s1, s1, 0x5f7ffffc
	s_mul_f32 s16, s1, 0x2f800000
	s_delay_alu instid0(SALU_CYCLE_3) | instskip(NEXT) | instid1(SALU_CYCLE_3)
	s_trunc_f32 s16, s16
	s_fmamk_f32 s1, s16, 0xcf800000, s1
	s_cvt_u32_f32 s35, s16
	s_delay_alu instid0(SALU_CYCLE_2) | instskip(NEXT) | instid1(SALU_CYCLE_3)
	s_cvt_u32_f32 s34, s1
	s_mul_u64 s[38:39], s[36:37], s[34:35]
	s_delay_alu instid0(SALU_CYCLE_1)
	s_mul_hi_u32 s41, s34, s39
	s_mul_i32 s40, s34, s39
	s_mul_hi_u32 s16, s34, s38
	s_mul_i32 s25, s35, s38
	s_add_nc_u64 s[40:41], s[16:17], s[40:41]
	s_mul_hi_u32 s1, s35, s38
	s_mul_hi_u32 s42, s35, s39
	s_add_co_u32 s16, s40, s25
	s_add_co_ci_u32 s16, s41, s1
	s_mul_i32 s38, s35, s39
	s_add_co_ci_u32 s39, s42, 0
	s_delay_alu instid0(SALU_CYCLE_1) | instskip(NEXT) | instid1(SALU_CYCLE_1)
	s_add_nc_u64 s[38:39], s[16:17], s[38:39]
	s_add_co_u32 s34, s34, s38
	s_cselect_b32 s1, -1, 0
	s_delay_alu instid0(SALU_CYCLE_1) | instskip(SKIP_1) | instid1(SALU_CYCLE_1)
	s_cmp_lg_u32 s1, 0
	s_add_co_ci_u32 s35, s35, s39
	s_mul_u64 s[36:37], s[36:37], s[34:35]
	s_delay_alu instid0(SALU_CYCLE_1)
	s_mul_hi_u32 s39, s34, s37
	s_mul_i32 s38, s34, s37
	s_mul_hi_u32 s16, s34, s36
	s_mul_i32 s25, s35, s36
	s_add_nc_u64 s[38:39], s[16:17], s[38:39]
	s_mul_hi_u32 s1, s35, s36
	s_mul_hi_u32 s40, s35, s37
	s_add_co_u32 s16, s38, s25
	s_add_co_ci_u32 s16, s39, s1
	s_mul_i32 s36, s35, s37
	s_add_co_ci_u32 s37, s40, 0
	s_delay_alu instid0(SALU_CYCLE_1) | instskip(NEXT) | instid1(SALU_CYCLE_1)
	s_add_nc_u64 s[36:37], s[16:17], s[36:37]
	s_add_co_u32 s34, s34, s36
	s_cselect_b32 s1, -1, 0
	v_mul_hi_u32 v26, v18, s34
	s_cmp_lg_u32 s1, 0
	s_add_co_ci_u32 s16, s35, s37
	s_and_b64 s[36:37], s[34:35], s[2:3]
	v_mul_u64_e32 v[20:21], s[16:17], v[18:19]
	v_mul_u64_e32 v[4:5], s[36:37], v[22:23]
	;; [unrolled: 1-line block ×3, first 2 shown]
	s_delay_alu instid0(VALU_DEP_3) | instskip(NEXT) | instid1(VALU_DEP_1)
	v_add_nc_u64_e32 v[20:21], v[26:27], v[20:21]
	v_add_co_u32 v3, vcc_lo, v20, v4
	s_delay_alu instid0(VALU_DEP_2) | instskip(NEXT) | instid1(VALU_DEP_4)
	v_add_co_ci_u32_e32 v26, vcc_lo, v21, v5, vcc_lo
	v_add_co_ci_u32_e32 v25, vcc_lo, 0, v25, vcc_lo
	s_delay_alu instid0(VALU_DEP_1) | instskip(NEXT) | instid1(VALU_DEP_1)
	v_add_nc_u64_e32 v[4:5], v[26:27], v[24:25]
	v_mul_u64_e32 v[4:5], s[26:27], v[4:5]
	s_delay_alu instid0(VALU_DEP_1) | instskip(NEXT) | instid1(VALU_DEP_1)
	v_sub_co_u32 v4, vcc_lo, v18, v4
	v_cmp_le_u32_e64 s1, s26, v4
	s_delay_alu instid0(VALU_DEP_1) | instskip(NEXT) | instid1(VALU_DEP_4)
	v_cndmask_b32_e64 v19, 0, -1, s1
	v_sub_nc_u32_e32 v3, v22, v5
	v_sub_co_ci_u32_e64 v5, null, v22, v5, vcc_lo
	s_delay_alu instid0(VALU_DEP_2) | instskip(SKIP_1) | instid1(VALU_DEP_1)
	v_subrev_co_ci_u32_e64 v3, null, s27, v3, vcc_lo
	v_sub_co_u32 v17, vcc_lo, v4, s26
	v_subrev_co_ci_u32_e64 v18, null, 0, v3, vcc_lo
	s_delay_alu instid0(VALU_DEP_2) | instskip(SKIP_2) | instid1(VALU_DEP_3)
	v_cmp_le_u32_e64 s1, s26, v17
	v_subrev_co_ci_u32_e64 v3, null, s27, v3, vcc_lo
	v_cmp_le_u32_e32 vcc_lo, s27, v5
	v_cndmask_b32_e64 v20, 0, -1, s1
	v_cmp_le_u32_e64 s1, s27, v18
	v_cndmask_b32_e64 v22, 0, -1, vcc_lo
	v_cmp_eq_u32_e32 vcc_lo, s27, v18
	s_delay_alu instid0(VALU_DEP_3) | instskip(SKIP_1) | instid1(VALU_DEP_2)
	v_cndmask_b32_e64 v21, 0, -1, s1
	v_cmp_eq_u32_e64 s1, s27, v5
	v_cndmask_b32_e32 v20, v21, v20, vcc_lo
	v_sub_co_u32 v21, vcc_lo, v17, s26
	s_delay_alu instid0(VALU_DEP_1) | instskip(NEXT) | instid1(VALU_DEP_3)
	v_subrev_co_ci_u32_e64 v3, null, 0, v3, vcc_lo
	v_cmp_ne_u32_e32 vcc_lo, 0, v20
	v_cndmask_b32_e64 v19, v22, v19, s1
	s_delay_alu instid0(VALU_DEP_3) | instskip(NEXT) | instid1(VALU_DEP_2)
	v_dual_cndmask_b32 v3, v18, v3, vcc_lo :: v_dual_cndmask_b32 v17, v17, v21, vcc_lo
	v_cmp_ne_u32_e32 vcc_lo, 0, v19
	s_delay_alu instid0(VALU_DEP_2) | instskip(NEXT) | instid1(VALU_DEP_1)
	v_dual_cndmask_b32 v3, v5, v3 :: v_dual_cndmask_b32 v4, v4, v17
	v_xor_b32_e32 v5, v3, v6
	s_delay_alu instid0(VALU_DEP_2) | instskip(NEXT) | instid1(VALU_DEP_1)
	v_xor_b32_e32 v4, v4, v6
	v_sub_nc_u64_e32 v[6:7], v[4:5], v[6:7]
                                        ; implicit-def: $vgpr4_vgpr5
.LBB2_9:                                ;   in Loop: Header=BB2_6 Depth=2
	s_and_not1_saveexec_b32 s1, s33
	s_cbranch_execz .LBB2_11
; %bb.10:                               ;   in Loop: Header=BB2_6 Depth=2
	v_mul_hi_u32 v3, v4, v12
	v_mov_b32_e32 v7, v2
	s_delay_alu instid0(VALU_DEP_2) | instskip(NEXT) | instid1(VALU_DEP_1)
	v_mul_lo_u32 v3, v3, s6
	v_sub_nc_u32_e32 v3, v4, v3
	s_delay_alu instid0(VALU_DEP_1) | instskip(SKIP_1) | instid1(VALU_DEP_2)
	v_subrev_nc_u32_e32 v4, s6, v3
	v_cmp_le_u32_e32 vcc_lo, s6, v3
	v_cndmask_b32_e32 v3, v3, v4, vcc_lo
	s_delay_alu instid0(VALU_DEP_1) | instskip(SKIP_1) | instid1(VALU_DEP_2)
	v_subrev_nc_u32_e32 v4, s6, v3
	v_cmp_le_u32_e32 vcc_lo, s6, v3
	v_cndmask_b32_e32 v6, v3, v4, vcc_lo
.LBB2_11:                               ;   in Loop: Header=BB2_6 Depth=2
	s_or_b32 exec_lo, exec_lo, s1
.LBB2_12:                               ;   in Loop: Header=BB2_6 Depth=2
	s_delay_alu instid0(SALU_CYCLE_1)
	s_or_b32 exec_lo, exec_lo, s31
	s_wait_dscnt 0x1
	ds_bpermute_b32 v4, v2, v6
	s_wait_dscnt 0x1
	ds_bpermute_b32 v5, v2, v7
	s_and_not1_b32 vcc_lo, exec_lo, s29
	s_cbranch_vccnz .LBB2_5
; %bb.13:                               ;   in Loop: Header=BB2_6 Depth=2
	s_mov_b32 s31, s13
	s_branch .LBB2_15
.LBB2_14:                               ;   in Loop: Header=BB2_15 Depth=3
	s_or_b32 exec_lo, exec_lo, s1
	global_load_b96 v[18:20], v6, s[4:5] scale_offset
	v_add_nc_u64_e32 v[4:5], 1, v[4:5]
	s_add_co_i32 s31, s31, -1
	s_delay_alu instid0(SALU_CYCLE_1)
	s_cmp_eq_u32 s31, 0
	s_wait_loadcnt 0x0
	v_mad_u32 v3, v18, s20, v8
	s_wait_xcnt 0x0
	v_mad_u32 v6, v19, s20, v8
	global_load_u16 v7, v3, s[8:9] offset:64 scale_offset
	global_load_u16 v17, v6, s[10:11] offset:64 scale_offset
	global_load_u16 v18, v3, s[8:9] scale_offset
	s_clause 0x1
	global_load_u16 v19, v6, s[10:11] scale_offset
	global_load_u16 v21, v6, s[10:11] offset:128 scale_offset
	s_clause 0x1
	global_load_u16 v22, v3, s[8:9] offset:128 scale_offset
	global_load_u16 v23, v3, s[8:9] offset:192 scale_offset
	;; [unrolled: 1-line block ×3, first 2 shown]
	s_wait_loadcnt 0x7
	v_cvt_f32_f16_e32 v25, v7
	s_wait_loadcnt 0x6
	v_cvt_f32_f16_e32 v26, v17
	;; [unrolled: 2-line block ×5, first 2 shown]
	v_mul_f32_e32 v27, v25, v26
	s_wait_loadcnt 0x0
	v_cvt_f32_f16_e32 v33, v24
	v_cvt_f32_f16_e32 v32, v23
	v_mul_f32_e32 v29, s15, v29
	v_mul_f32_e32 v25, s14, v25
	v_fma_mix_f32 v27, v18, v19, v27 op_sel_hi:[1,1,0]
	v_mul_f32_e32 v26, s15, v26
	s_delay_alu instid0(VALU_DEP_2) | instskip(NEXT) | instid1(VALU_DEP_1)
	v_fma_mix_f32 v27, v22, v21, v27 op_sel_hi:[1,1,0]
	v_fma_mix_f32 v27, v23, v24, v27 op_sel_hi:[1,1,0]
	ds_bpermute_b32 v28, v11, v27
	s_wait_dscnt 0x0
	v_add_f32_e32 v27, v27, v28
	ds_bpermute_b32 v28, v13, v27
	s_wait_dscnt 0x0
	v_add_f32_e32 v27, v27, v28
	ds_bpermute_b32 v28, v14, v27
	s_wait_dscnt 0x0
	v_add_f32_e32 v27, v27, v28
	ds_bpermute_b32 v28, v15, v27
	s_wait_dscnt 0x0
	v_add_f32_e32 v27, v27, v28
	ds_bpermute_b32 v28, v16, v27
	s_wait_dscnt 0x0
	v_add_f32_e32 v27, v27, v28
	v_cvt_f32_f16_e32 v28, v18
	ds_bpermute_b32 v27, v2, v27
	s_wait_dscnt 0x0
	v_dual_mul_f32 v28, s14, v28 :: v_dual_sub_f32 v20, v20, v27
	v_dual_mul_f32 v27, s14, v30 :: v_dual_mul_f32 v30, s15, v31
	v_dual_mul_f32 v31, s14, v32 :: v_dual_mul_f32 v32, s15, v33
	s_delay_alu instid0(VALU_DEP_3) | instskip(SKIP_1) | instid1(VALU_DEP_4)
	v_fma_mix_f32 v28, v20, v19, -v28 op_sel_hi:[0,1,0]
	v_fma_mix_f32 v25, v20, v17, -v25 op_sel_hi:[0,1,0]
	;; [unrolled: 1-line block ×3, first 2 shown]
	s_delay_alu instid0(VALU_DEP_4)
	v_fma_mix_f32 v31, v20, v24, -v31 op_sel_hi:[0,1,0]
	v_fma_mix_f32 v29, v20, v18, -v29 op_sel_hi:[0,1,0]
	;; [unrolled: 1-line block ×5, first 2 shown]
	s_wait_kmcnt 0x0
	v_fma_mixlo_f16 v18, s23, v28, v18 op_sel_hi:[0,0,1]
	v_fma_mixlo_f16 v7, s23, v25, v7 op_sel_hi:[0,0,1]
	;; [unrolled: 1-line block ×8, first 2 shown]
	s_clause 0x3
	global_store_b16 v3, v18, s[8:9] scale_offset
	global_store_b16 v3, v7, s[8:9] offset:64 scale_offset
	global_store_b16 v3, v22, s[8:9] offset:128 scale_offset
	global_store_b16 v3, v23, s[8:9] offset:192 scale_offset
	s_clause 0x3
	global_store_b16 v6, v19, s[10:11] scale_offset
	global_store_b16 v6, v17, s[10:11] offset:64 scale_offset
	global_store_b16 v6, v21, s[10:11] offset:128 scale_offset
	global_store_b16 v6, v20, s[10:11] offset:192 scale_offset
	s_cbranch_scc1 .LBB2_5
.LBB2_15:                               ;   Parent Loop BB2_3 Depth=1
                                        ;     Parent Loop BB2_6 Depth=2
                                        ; =>    This Inner Loop Header: Depth=3
	s_wait_dscnt 0x0
	s_wait_xcnt 0x0
	v_or_b32_e32 v3, s7, v5
                                        ; implicit-def: $vgpr6_vgpr7
	s_mov_b32 s1, exec_lo
	s_delay_alu instid0(VALU_DEP_1)
	v_cmpx_ne_u64_e32 0, v[2:3]
	s_xor_b32 s33, exec_lo, s1
	s_cbranch_execz .LBB2_17
; %bb.16:                               ;   in Loop: Header=BB2_15 Depth=3
	s_mov_b32 s25, s24
	v_dual_mov_b32 v21, v2 :: v_dual_ashrrev_i32 v6, 31, v5
	s_wait_xcnt 0x0
	s_add_nc_u64 s[26:27], s[6:7], s[24:25]
	v_mov_b32_e32 v25, v2
	s_xor_b64 s[26:27], s[26:27], s[24:25]
	v_mov_b32_e32 v7, v6
	s_cvt_f32_u32 s1, s26
	s_cvt_f32_u32 s16, s27
	s_sub_nc_u64 s[36:37], 0, s[26:27]
	v_mov_b32_e32 v29, v2
	v_add_nc_u64_e32 v[18:19], v[4:5], v[6:7]
	s_fmamk_f32 s1, s16, 0x4f800000, s1
	s_delay_alu instid0(SALU_CYCLE_3) | instskip(NEXT) | instid1(VALU_DEP_1)
	v_s_rcp_f32 s1, s1
	v_xor_b32_e32 v24, v19, v6
	s_delay_alu instid0(VALU_DEP_2) | instskip(NEXT) | instid1(TRANS32_DEP_1)
	v_xor_b32_e32 v20, v18, v6
	s_mul_f32 s1, s1, 0x5f7ffffc
	s_delay_alu instid0(SALU_CYCLE_3) | instskip(NEXT) | instid1(SALU_CYCLE_3)
	s_mul_f32 s16, s1, 0x2f800000
	s_trunc_f32 s16, s16
	s_delay_alu instid0(SALU_CYCLE_3) | instskip(SKIP_1) | instid1(SALU_CYCLE_2)
	s_fmamk_f32 s1, s16, 0xcf800000, s1
	s_cvt_u32_f32 s35, s16
	s_cvt_u32_f32 s34, s1
	s_delay_alu instid0(SALU_CYCLE_3) | instskip(NEXT) | instid1(SALU_CYCLE_1)
	s_mul_u64 s[38:39], s[36:37], s[34:35]
	s_mul_hi_u32 s41, s34, s39
	s_mul_i32 s40, s34, s39
	s_mul_hi_u32 s16, s34, s38
	s_mul_i32 s25, s35, s38
	s_add_nc_u64 s[40:41], s[16:17], s[40:41]
	s_mul_hi_u32 s1, s35, s38
	s_mul_hi_u32 s42, s35, s39
	s_add_co_u32 s16, s40, s25
	s_add_co_ci_u32 s16, s41, s1
	s_mul_i32 s38, s35, s39
	s_add_co_ci_u32 s39, s42, 0
	s_delay_alu instid0(SALU_CYCLE_1) | instskip(NEXT) | instid1(SALU_CYCLE_1)
	s_add_nc_u64 s[38:39], s[16:17], s[38:39]
	s_add_co_u32 s34, s34, s38
	s_cselect_b32 s1, -1, 0
	s_delay_alu instid0(SALU_CYCLE_1) | instskip(SKIP_1) | instid1(SALU_CYCLE_1)
	s_cmp_lg_u32 s1, 0
	s_add_co_ci_u32 s35, s35, s39
	s_mul_u64 s[36:37], s[36:37], s[34:35]
	s_delay_alu instid0(SALU_CYCLE_1)
	s_mul_hi_u32 s39, s34, s37
	s_mul_i32 s38, s34, s37
	s_mul_hi_u32 s16, s34, s36
	s_mul_i32 s25, s35, s36
	s_add_nc_u64 s[38:39], s[16:17], s[38:39]
	s_mul_hi_u32 s1, s35, s36
	s_mul_hi_u32 s40, s35, s37
	s_add_co_u32 s16, s38, s25
	s_add_co_ci_u32 s16, s39, s1
	s_mul_i32 s36, s35, s37
	s_add_co_ci_u32 s37, s40, 0
	s_delay_alu instid0(SALU_CYCLE_1) | instskip(NEXT) | instid1(SALU_CYCLE_1)
	s_add_nc_u64 s[36:37], s[16:17], s[36:37]
	s_add_co_u32 s34, s34, s36
	s_cselect_b32 s1, -1, 0
	v_mul_hi_u32 v28, v20, s34
	s_cmp_lg_u32 s1, 0
	s_add_co_ci_u32 s16, s35, s37
	s_and_b64 s[36:37], s[34:35], s[2:3]
	v_mul_u64_e32 v[22:23], s[16:17], v[20:21]
	v_mul_u64_e32 v[18:19], s[36:37], v[24:25]
	;; [unrolled: 1-line block ×3, first 2 shown]
	s_delay_alu instid0(VALU_DEP_3) | instskip(NEXT) | instid1(VALU_DEP_1)
	v_add_nc_u64_e32 v[22:23], v[28:29], v[22:23]
	v_add_co_u32 v3, vcc_lo, v22, v18
	s_delay_alu instid0(VALU_DEP_2) | instskip(NEXT) | instid1(VALU_DEP_4)
	v_add_co_ci_u32_e32 v28, vcc_lo, v23, v19, vcc_lo
	v_add_co_ci_u32_e32 v27, vcc_lo, 0, v27, vcc_lo
	s_delay_alu instid0(VALU_DEP_1) | instskip(NEXT) | instid1(VALU_DEP_1)
	v_add_nc_u64_e32 v[18:19], v[28:29], v[26:27]
	v_mul_u64_e32 v[18:19], s[26:27], v[18:19]
	s_delay_alu instid0(VALU_DEP_1) | instskip(NEXT) | instid1(VALU_DEP_2)
	v_sub_nc_u32_e32 v3, v24, v19
	v_sub_co_u32 v17, vcc_lo, v20, v18
	s_delay_alu instid0(VALU_DEP_1) | instskip(NEXT) | instid1(VALU_DEP_3)
	v_sub_co_ci_u32_e64 v18, null, v24, v19, vcc_lo
	v_subrev_co_ci_u32_e64 v3, null, s27, v3, vcc_lo
	s_delay_alu instid0(VALU_DEP_3) | instskip(SKIP_1) | instid1(VALU_DEP_3)
	v_sub_co_u32 v19, vcc_lo, v17, s26
	v_cmp_le_u32_e64 s1, s26, v17
	v_subrev_co_ci_u32_e64 v20, null, 0, v3, vcc_lo
	v_subrev_co_ci_u32_e64 v3, null, s27, v3, vcc_lo
	s_delay_alu instid0(VALU_DEP_3) | instskip(SKIP_2) | instid1(VALU_DEP_2)
	v_cndmask_b32_e64 v21, 0, -1, s1
	v_cmp_le_u32_e64 s1, s26, v19
	v_cmp_le_u32_e32 vcc_lo, s27, v18
	v_cndmask_b32_e64 v22, 0, -1, s1
	v_cmp_le_u32_e64 s1, s27, v20
	v_cndmask_b32_e64 v24, 0, -1, vcc_lo
	v_cmp_eq_u32_e32 vcc_lo, s27, v20
	s_delay_alu instid0(VALU_DEP_3) | instskip(SKIP_1) | instid1(VALU_DEP_1)
	v_cndmask_b32_e64 v23, 0, -1, s1
	v_cmp_eq_u32_e64 s1, s27, v18
	v_dual_cndmask_b32 v22, v23, v22, vcc_lo :: v_dual_cndmask_b32 v21, v24, v21, s1
	v_sub_co_u32 v23, vcc_lo, v19, s26
	s_delay_alu instid0(VALU_DEP_1) | instskip(NEXT) | instid1(VALU_DEP_3)
	v_subrev_co_ci_u32_e64 v3, null, 0, v3, vcc_lo
	v_cmp_ne_u32_e32 vcc_lo, 0, v22
	s_delay_alu instid0(VALU_DEP_2) | instskip(NEXT) | instid1(VALU_DEP_4)
	v_cndmask_b32_e32 v3, v20, v3, vcc_lo
	v_cndmask_b32_e32 v19, v19, v23, vcc_lo
	v_cmp_ne_u32_e32 vcc_lo, 0, v21
	s_delay_alu instid0(VALU_DEP_3) | instskip(NEXT) | instid1(VALU_DEP_1)
	v_cndmask_b32_e32 v3, v18, v3, vcc_lo
	v_dual_cndmask_b32 v17, v17, v19, vcc_lo :: v_dual_bitop2_b32 v19, v3, v6 bitop3:0x14
	s_delay_alu instid0(VALU_DEP_1) | instskip(NEXT) | instid1(VALU_DEP_1)
	v_xor_b32_e32 v18, v17, v6
	v_sub_nc_u64_e32 v[6:7], v[18:19], v[6:7]
.LBB2_17:                               ;   in Loop: Header=BB2_15 Depth=3
	s_and_not1_saveexec_b32 s1, s33
	s_cbranch_execz .LBB2_14
; %bb.18:                               ;   in Loop: Header=BB2_15 Depth=3
	v_mul_hi_u32 v3, v4, v12
	s_delay_alu instid0(VALU_DEP_1) | instskip(NEXT) | instid1(VALU_DEP_1)
	v_mul_lo_u32 v3, v3, s6
	v_sub_nc_u32_e32 v3, v4, v3
	s_delay_alu instid0(VALU_DEP_1) | instskip(SKIP_1) | instid1(VALU_DEP_2)
	v_subrev_nc_u32_e32 v6, s6, v3
	v_cmp_le_u32_e32 vcc_lo, s6, v3
	v_cndmask_b32_e32 v3, v3, v6, vcc_lo
	s_delay_alu instid0(VALU_DEP_1) | instskip(SKIP_1) | instid1(VALU_DEP_2)
	v_subrev_nc_u32_e32 v6, s6, v3
	v_cmp_le_u32_e32 vcc_lo, s6, v3
	v_cndmask_b32_e32 v6, v3, v6, vcc_lo
	s_branch .LBB2_14
.LBB2_19:
	s_endpgm
	.section	.rodata,"a",@progbits
	.p2align	6, 0x0
	.amdhsa_kernel _Z36sgd_k128_kernel_hogwild_warp32_lratePK7mf_nodexP6__halfS3_PjPKfxxiiiiiiffiiii
		.amdhsa_group_segment_fixed_size 0
		.amdhsa_private_segment_fixed_size 0
		.amdhsa_kernarg_size 112
		.amdhsa_user_sgpr_count 2
		.amdhsa_user_sgpr_dispatch_ptr 0
		.amdhsa_user_sgpr_queue_ptr 0
		.amdhsa_user_sgpr_kernarg_segment_ptr 1
		.amdhsa_user_sgpr_dispatch_id 0
		.amdhsa_user_sgpr_kernarg_preload_length 0
		.amdhsa_user_sgpr_kernarg_preload_offset 0
		.amdhsa_user_sgpr_private_segment_size 0
		.amdhsa_wavefront_size32 1
		.amdhsa_uses_dynamic_stack 0
		.amdhsa_enable_private_segment 0
		.amdhsa_system_sgpr_workgroup_id_x 1
		.amdhsa_system_sgpr_workgroup_id_y 0
		.amdhsa_system_sgpr_workgroup_id_z 0
		.amdhsa_system_sgpr_workgroup_info 0
		.amdhsa_system_vgpr_workitem_id 0
		.amdhsa_next_free_vgpr 34
		.amdhsa_next_free_sgpr 43
		.amdhsa_named_barrier_count 0
		.amdhsa_reserve_vcc 1
		.amdhsa_float_round_mode_32 0
		.amdhsa_float_round_mode_16_64 0
		.amdhsa_float_denorm_mode_32 3
		.amdhsa_float_denorm_mode_16_64 3
		.amdhsa_fp16_overflow 0
		.amdhsa_memory_ordered 1
		.amdhsa_forward_progress 1
		.amdhsa_inst_pref_size 22
		.amdhsa_round_robin_scheduling 0
		.amdhsa_exception_fp_ieee_invalid_op 0
		.amdhsa_exception_fp_denorm_src 0
		.amdhsa_exception_fp_ieee_div_zero 0
		.amdhsa_exception_fp_ieee_overflow 0
		.amdhsa_exception_fp_ieee_underflow 0
		.amdhsa_exception_fp_ieee_inexact 0
		.amdhsa_exception_int_div_zero 0
	.end_amdhsa_kernel
	.text
.Lfunc_end2:
	.size	_Z36sgd_k128_kernel_hogwild_warp32_lratePK7mf_nodexP6__halfS3_PjPKfxxiiiiiiffiiii, .Lfunc_end2-_Z36sgd_k128_kernel_hogwild_warp32_lratePK7mf_nodexP6__halfS3_PjPKfxxiiiiiiffiiii
                                        ; -- End function
	.set _Z36sgd_k128_kernel_hogwild_warp32_lratePK7mf_nodexP6__halfS3_PjPKfxxiiiiiiffiiii.num_vgpr, 34
	.set _Z36sgd_k128_kernel_hogwild_warp32_lratePK7mf_nodexP6__halfS3_PjPKfxxiiiiiiffiiii.num_agpr, 0
	.set _Z36sgd_k128_kernel_hogwild_warp32_lratePK7mf_nodexP6__halfS3_PjPKfxxiiiiiiffiiii.numbered_sgpr, 43
	.set _Z36sgd_k128_kernel_hogwild_warp32_lratePK7mf_nodexP6__halfS3_PjPKfxxiiiiiiffiiii.num_named_barrier, 0
	.set _Z36sgd_k128_kernel_hogwild_warp32_lratePK7mf_nodexP6__halfS3_PjPKfxxiiiiiiffiiii.private_seg_size, 0
	.set _Z36sgd_k128_kernel_hogwild_warp32_lratePK7mf_nodexP6__halfS3_PjPKfxxiiiiiiffiiii.uses_vcc, 1
	.set _Z36sgd_k128_kernel_hogwild_warp32_lratePK7mf_nodexP6__halfS3_PjPKfxxiiiiiiffiiii.uses_flat_scratch, 0
	.set _Z36sgd_k128_kernel_hogwild_warp32_lratePK7mf_nodexP6__halfS3_PjPKfxxiiiiiiffiiii.has_dyn_sized_stack, 0
	.set _Z36sgd_k128_kernel_hogwild_warp32_lratePK7mf_nodexP6__halfS3_PjPKfxxiiiiiiffiiii.has_recursion, 0
	.set _Z36sgd_k128_kernel_hogwild_warp32_lratePK7mf_nodexP6__halfS3_PjPKfxxiiiiiiffiiii.has_indirect_call, 0
	.section	.AMDGPU.csdata,"",@progbits
; Kernel info:
; codeLenInByte = 2692
; TotalNumSgprs: 45
; NumVgprs: 34
; ScratchSize: 0
; MemoryBound: 0
; FloatMode: 240
; IeeeMode: 1
; LDSByteSize: 0 bytes/workgroup (compile time only)
; SGPRBlocks: 0
; VGPRBlocks: 2
; NumSGPRsForWavesPerEU: 45
; NumVGPRsForWavesPerEU: 34
; NamedBarCnt: 0
; Occupancy: 16
; WaveLimiterHint : 1
; COMPUTE_PGM_RSRC2:SCRATCH_EN: 0
; COMPUTE_PGM_RSRC2:USER_SGPR: 2
; COMPUTE_PGM_RSRC2:TRAP_HANDLER: 0
; COMPUTE_PGM_RSRC2:TGID_X_EN: 1
; COMPUTE_PGM_RSRC2:TGID_Y_EN: 0
; COMPUTE_PGM_RSRC2:TGID_Z_EN: 0
; COMPUTE_PGM_RSRC2:TIDIG_COMP_CNT: 0
	.text
	.protected	_Z15init_rand_statejPji ; -- Begin function _Z15init_rand_statejPji
	.globl	_Z15init_rand_statejPji
	.p2align	8
	.type	_Z15init_rand_statejPji,@function
_Z15init_rand_statejPji:                ; @_Z15init_rand_statejPji
; %bb.0:
	s_load_b32 s2, s[0:1], 0x24
	s_bfe_u32 s3, ttmp6, 0x4000c
	s_clause 0x1
	s_load_b32 s4, s[0:1], 0x0
	s_load_b32 s5, s[0:1], 0x10
	s_add_co_i32 s3, s3, 1
	s_and_b32 s6, ttmp6, 15
	s_mul_i32 s3, ttmp9, s3
	s_getreg_b32 s7, hwreg(HW_REG_IB_STS2, 6, 4)
	s_add_co_i32 s6, s6, s3
	s_wait_kmcnt 0x0
	s_and_b32 s2, s2, 0xffff
	s_cmp_eq_u32 s7, 0
	s_cselect_b32 s3, ttmp9, s6
	s_delay_alu instid0(SALU_CYCLE_1) | instskip(SKIP_1) | instid1(VALU_DEP_1)
	v_mad_u32 v0, s3, s2, v0
	s_mov_b32 s2, exec_lo
	v_xor_b32_e32 v1, s4, v0
	v_cmpx_gt_i32_e64 s5, v0
; %bb.1:
	s_delay_alu instid0(VALU_DEP_2) | instskip(NEXT) | instid1(VALU_DEP_1)
	v_mad_u32 v1, 0x1984a2d, v1, 1
	v_and_b32_e32 v1, 0x7fffffff, v1
; %bb.2:
	s_or_b32 exec_lo, exec_lo, s2
	s_load_b64 s[0:1], s[0:1], 0x8
	s_wait_kmcnt 0x0
	global_store_b32 v0, v1, s[0:1] scale_offset
	s_endpgm
	.section	.rodata,"a",@progbits
	.p2align	6, 0x0
	.amdhsa_kernel _Z15init_rand_statejPji
		.amdhsa_group_segment_fixed_size 0
		.amdhsa_private_segment_fixed_size 0
		.amdhsa_kernarg_size 280
		.amdhsa_user_sgpr_count 2
		.amdhsa_user_sgpr_dispatch_ptr 0
		.amdhsa_user_sgpr_queue_ptr 0
		.amdhsa_user_sgpr_kernarg_segment_ptr 1
		.amdhsa_user_sgpr_dispatch_id 0
		.amdhsa_user_sgpr_kernarg_preload_length 0
		.amdhsa_user_sgpr_kernarg_preload_offset 0
		.amdhsa_user_sgpr_private_segment_size 0
		.amdhsa_wavefront_size32 1
		.amdhsa_uses_dynamic_stack 0
		.amdhsa_enable_private_segment 0
		.amdhsa_system_sgpr_workgroup_id_x 1
		.amdhsa_system_sgpr_workgroup_id_y 0
		.amdhsa_system_sgpr_workgroup_id_z 0
		.amdhsa_system_sgpr_workgroup_info 0
		.amdhsa_system_vgpr_workitem_id 0
		.amdhsa_next_free_vgpr 2
		.amdhsa_next_free_sgpr 8
		.amdhsa_named_barrier_count 0
		.amdhsa_reserve_vcc 0
		.amdhsa_float_round_mode_32 0
		.amdhsa_float_round_mode_16_64 0
		.amdhsa_float_denorm_mode_32 3
		.amdhsa_float_denorm_mode_16_64 3
		.amdhsa_fp16_overflow 0
		.amdhsa_memory_ordered 1
		.amdhsa_forward_progress 1
		.amdhsa_inst_pref_size 2
		.amdhsa_round_robin_scheduling 0
		.amdhsa_exception_fp_ieee_invalid_op 0
		.amdhsa_exception_fp_denorm_src 0
		.amdhsa_exception_fp_ieee_div_zero 0
		.amdhsa_exception_fp_ieee_overflow 0
		.amdhsa_exception_fp_ieee_underflow 0
		.amdhsa_exception_fp_ieee_inexact 0
		.amdhsa_exception_int_div_zero 0
	.end_amdhsa_kernel
	.text
.Lfunc_end3:
	.size	_Z15init_rand_statejPji, .Lfunc_end3-_Z15init_rand_statejPji
                                        ; -- End function
	.set _Z15init_rand_statejPji.num_vgpr, 2
	.set _Z15init_rand_statejPji.num_agpr, 0
	.set _Z15init_rand_statejPji.numbered_sgpr, 8
	.set _Z15init_rand_statejPji.num_named_barrier, 0
	.set _Z15init_rand_statejPji.private_seg_size, 0
	.set _Z15init_rand_statejPji.uses_vcc, 0
	.set _Z15init_rand_statejPji.uses_flat_scratch, 0
	.set _Z15init_rand_statejPji.has_dyn_sized_stack, 0
	.set _Z15init_rand_statejPji.has_recursion, 0
	.set _Z15init_rand_statejPji.has_indirect_call, 0
	.section	.AMDGPU.csdata,"",@progbits
; Kernel info:
; codeLenInByte = 160
; TotalNumSgprs: 8
; NumVgprs: 2
; ScratchSize: 0
; MemoryBound: 0
; FloatMode: 240
; IeeeMode: 1
; LDSByteSize: 0 bytes/workgroup (compile time only)
; SGPRBlocks: 0
; VGPRBlocks: 0
; NumSGPRsForWavesPerEU: 8
; NumVGPRsForWavesPerEU: 2
; NamedBarCnt: 0
; Occupancy: 16
; WaveLimiterHint : 0
; COMPUTE_PGM_RSRC2:SCRATCH_EN: 0
; COMPUTE_PGM_RSRC2:USER_SGPR: 2
; COMPUTE_PGM_RSRC2:TRAP_HANDLER: 0
; COMPUTE_PGM_RSRC2:TGID_X_EN: 1
; COMPUTE_PGM_RSRC2:TGID_Y_EN: 0
; COMPUTE_PGM_RSRC2:TGID_Z_EN: 0
; COMPUTE_PGM_RSRC2:TIDIG_COMP_CNT: 0
	.text
	.protected	_Z14transform_halfPK6__halfPfx ; -- Begin function _Z14transform_halfPK6__halfPfx
	.globl	_Z14transform_halfPK6__halfPfx
	.p2align	8
	.type	_Z14transform_halfPK6__halfPfx,@function
_Z14transform_halfPK6__halfPfx:         ; @_Z14transform_halfPK6__halfPfx
; %bb.0:
	s_clause 0x1
	s_load_b32 s2, s[0:1], 0x24
	s_load_b64 s[4:5], s[0:1], 0x10
	s_bfe_u32 s3, ttmp6, 0x4000c
	s_and_b32 s6, ttmp6, 15
	s_add_co_i32 s3, s3, 1
	s_getreg_b32 s7, hwreg(HW_REG_IB_STS2, 6, 4)
	s_mul_i32 s3, ttmp9, s3
	s_delay_alu instid0(SALU_CYCLE_1)
	s_add_co_i32 s6, s6, s3
	s_wait_kmcnt 0x0
	s_and_b32 s2, s2, 0xffff
	s_cmp_eq_u32 s7, 0
	s_cselect_b32 s3, ttmp9, s6
	s_mov_b32 s6, exec_lo
	v_mad_u32 v0, s3, s2, v0
	s_mov_b32 s3, 0
	s_delay_alu instid0(VALU_DEP_1) | instskip(NEXT) | instid1(VALU_DEP_1)
	v_ashrrev_i32_e32 v1, 31, v0
	v_cmpx_gt_i64_e64 s[4:5], v[0:1]
	s_cbranch_execz .LBB4_14
; %bb.1:
	s_add_nc_u64 s[6:7], s[0:1], 24
                                        ; implicit-def: $vgpr8_vgpr9
	s_load_b32 s6, s[6:7], 0x0
	s_wait_kmcnt 0x0
	s_mul_i32 s6, s6, s2
	s_mov_b32 s2, exec_lo
	s_ashr_i32 s7, s6, 31
	v_mov_b32_e32 v3, s3
	v_add_nc_u64_e32 v[4:5], s[6:7], v[0:1]
	s_delay_alu instid0(VALU_DEP_1) | instskip(SKIP_2) | instid1(VALU_DEP_1)
	v_max_i64 v[6:7], s[4:5], v[4:5]
	v_cmp_gt_i64_e32 vcc_lo, s[4:5], v[4:5]
	v_cndmask_b32_e64 v2, 0, 1, vcc_lo
	v_add_nc_u64_e32 v[4:5], v[4:5], v[2:3]
	s_delay_alu instid0(VALU_DEP_1) | instskip(NEXT) | instid1(VALU_DEP_1)
	v_sub_nc_u64_e32 v[4:5], v[6:7], v[4:5]
	v_dual_mov_b32 v6, 0 :: v_dual_bitop2_b32 v7, s7, v5 bitop3:0x54
	s_delay_alu instid0(VALU_DEP_1)
	v_cmpx_ne_u64_e32 0, v[6:7]
	s_xor_b32 s3, exec_lo, s2
	s_cbranch_execz .LBB4_3
; %bb.2:
	s_cvt_f32_u32 s2, s6
	s_cvt_f32_u32 s8, s7
	s_sub_nc_u64 s[10:11], 0, s[6:7]
	s_mov_b32 s15, 0
	v_dual_mov_b32 v8, v4 :: v_dual_mov_b32 v9, v6
	s_fmamk_f32 s2, s8, 0x4f800000, s2
	v_dual_mov_b32 v10, v5 :: v_dual_mov_b32 v11, v6
	v_dual_mov_b32 v15, v6 :: v_dual_mov_b32 v7, v6
	s_delay_alu instid0(SALU_CYCLE_1) | instskip(NEXT) | instid1(TRANS32_DEP_1)
	v_s_rcp_f32 s2, s2
	s_mul_f32 s2, s2, 0x5f7ffffc
	s_delay_alu instid0(SALU_CYCLE_3) | instskip(NEXT) | instid1(SALU_CYCLE_3)
	s_mul_f32 s8, s2, 0x2f800000
	s_trunc_f32 s8, s8
	s_delay_alu instid0(SALU_CYCLE_3) | instskip(SKIP_1) | instid1(SALU_CYCLE_2)
	s_fmamk_f32 s2, s8, 0xcf800000, s2
	s_cvt_u32_f32 s9, s8
	s_cvt_u32_f32 s8, s2
	s_delay_alu instid0(SALU_CYCLE_3) | instskip(NEXT) | instid1(SALU_CYCLE_1)
	s_mul_u64 s[12:13], s[10:11], s[8:9]
	s_mul_hi_u32 s17, s8, s13
	s_mul_i32 s16, s8, s13
	s_mul_hi_u32 s14, s8, s12
	s_mul_i32 s18, s9, s12
	s_add_nc_u64 s[16:17], s[14:15], s[16:17]
	s_mul_hi_u32 s2, s9, s12
	s_mul_hi_u32 s19, s9, s13
	s_mul_i32 s12, s9, s13
	s_add_co_u32 s13, s16, s18
	s_add_co_ci_u32 s14, s17, s2
	s_add_co_ci_u32 s13, s19, 0
	s_delay_alu instid0(SALU_CYCLE_1) | instskip(NEXT) | instid1(SALU_CYCLE_1)
	s_add_nc_u64 s[12:13], s[14:15], s[12:13]
	s_add_co_u32 s8, s8, s12
	s_cselect_b32 s2, -1, 0
	s_delay_alu instid0(SALU_CYCLE_1) | instskip(SKIP_1) | instid1(SALU_CYCLE_1)
	s_cmp_lg_u32 s2, 0
	s_add_co_ci_u32 s9, s9, s13
	s_mul_u64 s[10:11], s[10:11], s[8:9]
	s_delay_alu instid0(SALU_CYCLE_1)
	s_mul_hi_u32 s13, s8, s11
	s_mul_i32 s12, s8, s11
	s_mul_hi_u32 s14, s8, s10
	s_mul_i32 s16, s9, s10
	s_add_nc_u64 s[12:13], s[14:15], s[12:13]
	s_mul_hi_u32 s2, s9, s10
	s_mul_hi_u32 s17, s9, s11
	s_mul_i32 s10, s9, s11
	s_add_co_u32 s11, s12, s16
	s_add_co_ci_u32 s14, s13, s2
	s_add_co_ci_u32 s11, s17, 0
	s_delay_alu instid0(SALU_CYCLE_1) | instskip(NEXT) | instid1(SALU_CYCLE_1)
	s_add_nc_u64 s[10:11], s[14:15], s[10:11]
	s_add_co_u32 s2, s8, s10
	s_cselect_b32 s8, -1, 0
	v_nop
	v_mul_hi_u32 v14, v4, s2
	s_cmp_lg_u32 s8, 0
	s_add_co_ci_u32 s14, s9, s11
	s_mov_b64 s[8:9], 0xffffffff
	v_mul_u64_e32 v[8:9], s[14:15], v[8:9]
	s_and_b64 s[8:9], s[2:3], s[8:9]
	s_delay_alu instid0(SALU_CYCLE_1) | instskip(SKIP_1) | instid1(VALU_DEP_3)
	v_mul_u64_e32 v[12:13], s[8:9], v[10:11]
	v_mul_u64_e32 v[10:11], s[14:15], v[10:11]
	v_add_nc_u64_e32 v[8:9], v[14:15], v[8:9]
	s_delay_alu instid0(VALU_DEP_1) | instskip(NEXT) | instid1(VALU_DEP_2)
	v_add_co_u32 v6, vcc_lo, v8, v12
	v_add_co_ci_u32_e32 v6, vcc_lo, v9, v13, vcc_lo
	s_delay_alu instid0(VALU_DEP_4) | instskip(NEXT) | instid1(VALU_DEP_1)
	v_add_co_ci_u32_e32 v11, vcc_lo, 0, v11, vcc_lo
	v_add_nc_u64_e32 v[6:7], v[6:7], v[10:11]
	s_delay_alu instid0(VALU_DEP_1) | instskip(NEXT) | instid1(VALU_DEP_1)
	v_mul_u64_e32 v[8:9], s[6:7], v[6:7]
	v_sub_nc_u32_e32 v10, v5, v9
	s_delay_alu instid0(VALU_DEP_2) | instskip(NEXT) | instid1(VALU_DEP_1)
	v_sub_co_u32 v4, vcc_lo, v4, v8
	v_sub_co_ci_u32_e64 v9, null, v5, v9, vcc_lo
	s_delay_alu instid0(VALU_DEP_3) | instskip(NEXT) | instid1(VALU_DEP_3)
	v_subrev_co_ci_u32_e64 v8, null, s7, v10, vcc_lo
	v_sub_co_u32 v12, s2, v4, s6
	v_cmp_le_u32_e32 vcc_lo, s6, v4
	s_delay_alu instid0(VALU_DEP_3) | instskip(NEXT) | instid1(VALU_DEP_3)
	v_subrev_co_ci_u32_e64 v8, null, 0, v8, s2
	v_cmp_le_u32_e64 s2, s6, v12
	v_add_nc_u64_e32 v[10:11], 2, v[6:7]
	v_cndmask_b32_e64 v14, 0, -1, vcc_lo
	s_delay_alu instid0(VALU_DEP_4) | instskip(SKIP_3) | instid1(VALU_DEP_1)
	v_cmp_eq_u32_e32 vcc_lo, s7, v8
	v_add_nc_u64_e32 v[4:5], 1, v[6:7]
	v_cndmask_b32_e64 v12, 0, -1, s2
	v_cmp_le_u32_e64 s2, s7, v8
	v_cndmask_b32_e64 v13, 0, -1, s2
	v_cmp_eq_u32_e64 s2, s7, v9
	s_delay_alu instid0(VALU_DEP_2) | instskip(SKIP_2) | instid1(VALU_DEP_3)
	v_cndmask_b32_e32 v8, v13, v12, vcc_lo
	v_cmp_le_u32_e32 vcc_lo, s7, v9
	v_cndmask_b32_e64 v12, 0, -1, vcc_lo
	v_cmp_ne_u32_e32 vcc_lo, 0, v8
	s_delay_alu instid0(VALU_DEP_2) | instskip(SKIP_1) | instid1(VALU_DEP_2)
	v_cndmask_b32_e64 v8, v12, v14, s2
	v_dual_cndmask_b32 v4, v4, v10 :: v_dual_cndmask_b32 v5, v5, v11
	v_cmp_ne_u32_e32 vcc_lo, 0, v8
	s_delay_alu instid0(VALU_DEP_2)
	v_dual_cndmask_b32 v8, v6, v4 :: v_dual_cndmask_b32 v9, v7, v5
                                        ; implicit-def: $vgpr4_vgpr5
.LBB4_3:
	s_and_not1_saveexec_b32 s2, s3
	s_cbranch_execz .LBB4_5
; %bb.4:
	v_cvt_f32_u32_e32 v5, s6
	s_sub_co_i32 s3, 0, s6
	v_mov_b32_e32 v9, 0
	s_delay_alu instid0(VALU_DEP_2) | instskip(SKIP_1) | instid1(TRANS32_DEP_1)
	v_rcp_iflag_f32_e32 v5, v5
	v_nop
	v_mul_f32_e32 v5, 0x4f7ffffe, v5
	s_delay_alu instid0(VALU_DEP_1) | instskip(NEXT) | instid1(VALU_DEP_1)
	v_cvt_u32_f32_e32 v5, v5
	v_mul_lo_u32 v6, s3, v5
	s_delay_alu instid0(VALU_DEP_1) | instskip(NEXT) | instid1(VALU_DEP_1)
	v_mul_hi_u32 v6, v5, v6
	v_add_nc_u32_e32 v5, v5, v6
	s_delay_alu instid0(VALU_DEP_1) | instskip(NEXT) | instid1(VALU_DEP_1)
	v_mul_hi_u32 v5, v4, v5
	v_mul_lo_u32 v6, v5, s6
	s_delay_alu instid0(VALU_DEP_1) | instskip(NEXT) | instid1(VALU_DEP_1)
	v_dual_sub_nc_u32 v4, v4, v6 :: v_dual_add_nc_u32 v6, 1, v5
	v_subrev_nc_u32_e32 v7, s6, v4
	v_cmp_le_u32_e32 vcc_lo, s6, v4
	s_delay_alu instid0(VALU_DEP_2) | instskip(NEXT) | instid1(VALU_DEP_1)
	v_dual_cndmask_b32 v4, v4, v7 :: v_dual_cndmask_b32 v5, v5, v6
	v_cmp_le_u32_e32 vcc_lo, s6, v4
	s_delay_alu instid0(VALU_DEP_2) | instskip(NEXT) | instid1(VALU_DEP_1)
	v_add_nc_u32_e32 v6, 1, v5
	v_cndmask_b32_e32 v8, v5, v6, vcc_lo
.LBB4_5:
	s_or_b32 exec_lo, exec_lo, s2
	s_load_b128 s[0:3], s[0:1], 0x0
	s_delay_alu instid0(VALU_DEP_1) | instskip(SKIP_2) | instid1(VALU_DEP_1)
	v_add_nc_u64_e32 v[2:3], v[8:9], v[2:3]
	s_mov_b32 s8, 0
                                        ; implicit-def: $vgpr4_vgpr5
	s_mov_b32 s9, exec_lo
	v_add_nc_u64_e32 v[6:7], 1, v[2:3]
                                        ; implicit-def: $vgpr2_vgpr3
	s_delay_alu instid0(VALU_DEP_1)
	v_cmpx_lt_u64_e32 1, v[6:7]
	s_xor_b32 s14, exec_lo, s9
	s_cbranch_execnz .LBB4_8
; %bb.6:
	s_and_not1_saveexec_b32 s9, s14
	s_cbranch_execnz .LBB4_11
.LBB4_7:
	s_or_b32 exec_lo, exec_lo, s9
	s_delay_alu instid0(SALU_CYCLE_1)
	s_and_b32 exec_lo, exec_lo, s8
	s_cbranch_execnz .LBB4_12
	s_branch .LBB4_14
.LBB4_8:
	v_dual_mov_b32 v3, v7 :: v_dual_bitop2_b32 v2, -2, v6 bitop3:0x40
	s_wait_kmcnt 0x0
	v_lshl_add_u64 v[4:5], v[0:1], 1, s[0:1]
	v_lshl_add_u64 v[8:9], v[0:1], 2, s[2:3]
	s_lshl_b64 s[8:9], s[6:7], 1
	s_lshl_b64 s[10:11], s[6:7], 2
	v_mov_b64_e32 v[10:11], v[2:3]
	s_lshl_b64 s[12:13], s[6:7], 3
	s_mov_b32 s15, 0
.LBB4_9:                                ; =>This Inner Loop Header: Depth=1
	v_add_nc_u64_e32 v[12:13], s[8:9], v[4:5]
	s_delay_alu instid0(VALU_DEP_2)
	v_add_nc_u64_e32 v[10:11], -2, v[10:11]
	s_clause 0x1
	global_load_u16 v14, v[4:5], off
	global_load_u16 v15, v[12:13], off
	s_wait_xcnt 0x0
	v_add_nc_u64_e32 v[12:13], s[10:11], v[8:9]
	v_cmp_eq_u64_e32 vcc_lo, 0, v[10:11]
	v_add_nc_u64_e32 v[4:5], s[10:11], v[4:5]
	s_or_b32 s15, vcc_lo, s15
	s_wait_loadcnt 0x1
	v_cvt_f32_f16_e32 v14, v14
	global_store_b32 v[8:9], v14, off
	s_wait_xcnt 0x0
	v_add_nc_u64_e32 v[8:9], s[12:13], v[8:9]
	s_wait_loadcnt 0x0
	v_cvt_f32_f16_e32 v14, v15
	global_store_b32 v[12:13], v14, off
	s_wait_xcnt 0x0
	s_and_not1_b32 exec_lo, exec_lo, s15
	s_cbranch_execnz .LBB4_9
; %bb.10:
	s_or_b32 exec_lo, exec_lo, s15
	v_mad_nc_u64_u32 v[0:1], v2, s6, v[0:1]
	v_cmp_ne_u64_e32 vcc_lo, v[6:7], v[2:3]
	v_mov_b64_e32 v[4:5], s[8:9]
	s_and_b32 s8, vcc_lo, exec_lo
	s_delay_alu instid0(VALU_DEP_3) | instskip(NEXT) | instid1(VALU_DEP_1)
	v_mad_u32 v1, v3, s6, v1
	v_mad_u32 v1, v2, s7, v1
	v_mov_b64_e32 v[2:3], s[10:11]
	s_and_not1_saveexec_b32 s9, s14
	s_cbranch_execz .LBB4_7
.LBB4_11:
	s_lshl_b64 s[10:11], s[6:7], 2
	s_lshl_b64 s[12:13], s[6:7], 1
	v_mov_b64_e32 v[2:3], s[10:11]
	v_mov_b64_e32 v[4:5], s[12:13]
	s_or_b32 s8, s8, exec_lo
	s_or_b32 exec_lo, exec_lo, s9
	s_delay_alu instid0(SALU_CYCLE_1)
	s_and_b32 exec_lo, exec_lo, s8
	s_cbranch_execz .LBB4_14
.LBB4_12:
	s_wait_kmcnt 0x0
	s_delay_alu instid0(VALU_DEP_2)
	v_lshl_add_u64 v[6:7], v[0:1], 2, s[2:3]
	v_lshl_add_u64 v[8:9], v[0:1], 1, s[0:1]
	s_mov_b32 s0, 0
.LBB4_13:                               ; =>This Inner Loop Header: Depth=1
	global_load_u16 v10, v[8:9], off
	v_add_nc_u64_e32 v[0:1], s[6:7], v[0:1]
	s_wait_xcnt 0x0
	v_add_nc_u64_e32 v[8:9], v[8:9], v[4:5]
	s_delay_alu instid0(VALU_DEP_2)
	v_cmp_le_i64_e32 vcc_lo, s[4:5], v[0:1]
	s_or_b32 s0, vcc_lo, s0
	s_wait_loadcnt 0x0
	v_cvt_f32_f16_e32 v10, v10
	global_store_b32 v[6:7], v10, off
	s_wait_xcnt 0x0
	v_add_nc_u64_e32 v[6:7], v[6:7], v[2:3]
	s_and_not1_b32 exec_lo, exec_lo, s0
	s_cbranch_execnz .LBB4_13
.LBB4_14:
	s_endpgm
	.section	.rodata,"a",@progbits
	.p2align	6, 0x0
	.amdhsa_kernel _Z14transform_halfPK6__halfPfx
		.amdhsa_group_segment_fixed_size 0
		.amdhsa_private_segment_fixed_size 0
		.amdhsa_kernarg_size 280
		.amdhsa_user_sgpr_count 2
		.amdhsa_user_sgpr_dispatch_ptr 0
		.amdhsa_user_sgpr_queue_ptr 0
		.amdhsa_user_sgpr_kernarg_segment_ptr 1
		.amdhsa_user_sgpr_dispatch_id 0
		.amdhsa_user_sgpr_kernarg_preload_length 0
		.amdhsa_user_sgpr_kernarg_preload_offset 0
		.amdhsa_user_sgpr_private_segment_size 0
		.amdhsa_wavefront_size32 1
		.amdhsa_uses_dynamic_stack 0
		.amdhsa_enable_private_segment 0
		.amdhsa_system_sgpr_workgroup_id_x 1
		.amdhsa_system_sgpr_workgroup_id_y 0
		.amdhsa_system_sgpr_workgroup_id_z 0
		.amdhsa_system_sgpr_workgroup_info 0
		.amdhsa_system_vgpr_workitem_id 0
		.amdhsa_next_free_vgpr 16
		.amdhsa_next_free_sgpr 20
		.amdhsa_named_barrier_count 0
		.amdhsa_reserve_vcc 1
		.amdhsa_float_round_mode_32 0
		.amdhsa_float_round_mode_16_64 0
		.amdhsa_float_denorm_mode_32 3
		.amdhsa_float_denorm_mode_16_64 3
		.amdhsa_fp16_overflow 0
		.amdhsa_memory_ordered 1
		.amdhsa_forward_progress 1
		.amdhsa_inst_pref_size 11
		.amdhsa_round_robin_scheduling 0
		.amdhsa_exception_fp_ieee_invalid_op 0
		.amdhsa_exception_fp_denorm_src 0
		.amdhsa_exception_fp_ieee_div_zero 0
		.amdhsa_exception_fp_ieee_overflow 0
		.amdhsa_exception_fp_ieee_underflow 0
		.amdhsa_exception_fp_ieee_inexact 0
		.amdhsa_exception_int_div_zero 0
	.end_amdhsa_kernel
	.text
.Lfunc_end4:
	.size	_Z14transform_halfPK6__halfPfx, .Lfunc_end4-_Z14transform_halfPK6__halfPfx
                                        ; -- End function
	.set _Z14transform_halfPK6__halfPfx.num_vgpr, 16
	.set _Z14transform_halfPK6__halfPfx.num_agpr, 0
	.set _Z14transform_halfPK6__halfPfx.numbered_sgpr, 20
	.set _Z14transform_halfPK6__halfPfx.num_named_barrier, 0
	.set _Z14transform_halfPK6__halfPfx.private_seg_size, 0
	.set _Z14transform_halfPK6__halfPfx.uses_vcc, 1
	.set _Z14transform_halfPK6__halfPfx.uses_flat_scratch, 0
	.set _Z14transform_halfPK6__halfPfx.has_dyn_sized_stack, 0
	.set _Z14transform_halfPK6__halfPfx.has_recursion, 0
	.set _Z14transform_halfPK6__halfPfx.has_indirect_call, 0
	.section	.AMDGPU.csdata,"",@progbits
; Kernel info:
; codeLenInByte = 1324
; TotalNumSgprs: 22
; NumVgprs: 16
; ScratchSize: 0
; MemoryBound: 0
; FloatMode: 240
; IeeeMode: 1
; LDSByteSize: 0 bytes/workgroup (compile time only)
; SGPRBlocks: 0
; VGPRBlocks: 0
; NumSGPRsForWavesPerEU: 22
; NumVGPRsForWavesPerEU: 16
; NamedBarCnt: 0
; Occupancy: 16
; WaveLimiterHint : 0
; COMPUTE_PGM_RSRC2:SCRATCH_EN: 0
; COMPUTE_PGM_RSRC2:USER_SGPR: 2
; COMPUTE_PGM_RSRC2:TRAP_HANDLER: 0
; COMPUTE_PGM_RSRC2:TGID_X_EN: 1
; COMPUTE_PGM_RSRC2:TGID_Y_EN: 0
; COMPUTE_PGM_RSRC2:TGID_Z_EN: 0
; COMPUTE_PGM_RSRC2:TIDIG_COMP_CNT: 0
	.text
	.p2alignl 7, 3214868480
	.fill 96, 4, 3214868480
	.section	.AMDGPU.gpr_maximums,"",@progbits
	.set amdgpu.max_num_vgpr, 0
	.set amdgpu.max_num_agpr, 0
	.set amdgpu.max_num_sgpr, 0
	.text
	.type	__hip_cuid_f6397470864edf33,@object ; @__hip_cuid_f6397470864edf33
	.section	.bss,"aw",@nobits
	.globl	__hip_cuid_f6397470864edf33
__hip_cuid_f6397470864edf33:
	.byte	0                               ; 0x0
	.size	__hip_cuid_f6397470864edf33, 1

	.ident	"AMD clang version 22.0.0git (https://github.com/RadeonOpenCompute/llvm-project roc-7.2.4 26084 f58b06dce1f9c15707c5f808fd002e18c2accf7e)"
	.section	".note.GNU-stack","",@progbits
	.addrsig
	.addrsig_sym __hip_cuid_f6397470864edf33
	.amdgpu_metadata
---
amdhsa.kernels:
  - .args:
      - .offset:         0
        .size:           4
        .value_kind:     by_value
      - .address_space:  global
        .offset:         8
        .size:           8
        .value_kind:     global_buffer
      - .offset:         16
        .size:           4
        .value_kind:     hidden_block_count_x
      - .offset:         20
        .size:           4
        .value_kind:     hidden_block_count_y
      - .offset:         24
        .size:           4
        .value_kind:     hidden_block_count_z
      - .offset:         28
        .size:           2
        .value_kind:     hidden_group_size_x
      - .offset:         30
        .size:           2
        .value_kind:     hidden_group_size_y
      - .offset:         32
        .size:           2
        .value_kind:     hidden_group_size_z
      - .offset:         34
        .size:           2
        .value_kind:     hidden_remainder_x
      - .offset:         36
        .size:           2
        .value_kind:     hidden_remainder_y
      - .offset:         38
        .size:           2
        .value_kind:     hidden_remainder_z
      - .offset:         56
        .size:           8
        .value_kind:     hidden_global_offset_x
      - .offset:         64
        .size:           8
        .value_kind:     hidden_global_offset_y
      - .offset:         72
        .size:           8
        .value_kind:     hidden_global_offset_z
      - .offset:         80
        .size:           2
        .value_kind:     hidden_grid_dims
    .group_segment_fixed_size: 0
    .kernarg_segment_align: 8
    .kernarg_segment_size: 272
    .language:       OpenCL C
    .language_version:
      - 2
      - 0
    .max_flat_workgroup_size: 1024
    .name:           _Z15init_rand_statejPj
    .private_segment_fixed_size: 0
    .sgpr_count:     7
    .sgpr_spill_count: 0
    .symbol:         _Z15init_rand_statejPj.kd
    .uniform_work_group_size: 1
    .uses_dynamic_stack: false
    .vgpr_count:     2
    .vgpr_spill_count: 0
    .wavefront_size: 32
  - .args:
      - .address_space:  global
        .offset:         0
        .size:           8
        .value_kind:     global_buffer
      - .offset:         8
        .size:           4
        .value_kind:     by_value
      - .actual_access:  write_only
        .address_space:  global
        .offset:         16
        .size:           8
        .value_kind:     global_buffer
      - .offset:         24
        .size:           8
        .value_kind:     by_value
      - .offset:         32
        .size:           8
        .value_kind:     by_value
      - .offset:         40
        .size:           4
        .value_kind:     by_value
      - .offset:         48
        .size:           4
        .value_kind:     hidden_block_count_x
      - .offset:         52
        .size:           4
        .value_kind:     hidden_block_count_y
      - .offset:         56
        .size:           4
        .value_kind:     hidden_block_count_z
      - .offset:         60
        .size:           2
        .value_kind:     hidden_group_size_x
      - .offset:         62
        .size:           2
        .value_kind:     hidden_group_size_y
      - .offset:         64
        .size:           2
        .value_kind:     hidden_group_size_z
      - .offset:         66
        .size:           2
        .value_kind:     hidden_remainder_x
      - .offset:         68
        .size:           2
        .value_kind:     hidden_remainder_y
      - .offset:         70
        .size:           2
        .value_kind:     hidden_remainder_z
      - .offset:         88
        .size:           8
        .value_kind:     hidden_global_offset_x
      - .offset:         96
        .size:           8
        .value_kind:     hidden_global_offset_y
      - .offset:         104
        .size:           8
        .value_kind:     hidden_global_offset_z
      - .offset:         112
        .size:           2
        .value_kind:     hidden_grid_dims
    .group_segment_fixed_size: 0
    .kernarg_segment_align: 8
    .kernarg_segment_size: 304
    .language:       OpenCL C
    .language_version:
      - 2
      - 0
    .max_flat_workgroup_size: 1024
    .name:           _Z11random_initPjiP6__halfxxf
    .private_segment_fixed_size: 0
    .sgpr_count:     15
    .sgpr_spill_count: 0
    .symbol:         _Z11random_initPjiP6__halfxxf.kd
    .uniform_work_group_size: 1
    .uses_dynamic_stack: false
    .vgpr_count:     7
    .vgpr_spill_count: 0
    .wavefront_size: 32
  - .args:
      - .actual_access:  read_only
        .address_space:  global
        .offset:         0
        .size:           8
        .value_kind:     global_buffer
      - .offset:         8
        .size:           8
        .value_kind:     by_value
      - .address_space:  global
        .offset:         16
        .size:           8
        .value_kind:     global_buffer
      - .address_space:  global
        .offset:         24
        .size:           8
        .value_kind:     global_buffer
      - .address_space:  global
        .offset:         32
        .size:           8
        .value_kind:     global_buffer
      - .actual_access:  read_only
        .address_space:  global
        .offset:         40
        .size:           8
        .value_kind:     global_buffer
      - .offset:         48
        .size:           8
        .value_kind:     by_value
      - .offset:         56
        .size:           8
        .value_kind:     by_value
      - .offset:         64
        .size:           4
        .value_kind:     by_value
      - .offset:         68
        .size:           4
        .value_kind:     by_value
      - .offset:         72
        .size:           4
        .value_kind:     by_value
      - .offset:         76
        .size:           4
        .value_kind:     by_value
      - .offset:         80
        .size:           4
        .value_kind:     by_value
      - .offset:         84
        .size:           4
        .value_kind:     by_value
      - .offset:         88
        .size:           4
        .value_kind:     by_value
      - .offset:         92
        .size:           4
        .value_kind:     by_value
      - .offset:         96
        .size:           4
        .value_kind:     by_value
      - .offset:         100
        .size:           4
        .value_kind:     by_value
      - .offset:         104
        .size:           4
        .value_kind:     by_value
      - .offset:         108
        .size:           4
        .value_kind:     by_value
    .group_segment_fixed_size: 0
    .kernarg_segment_align: 8
    .kernarg_segment_size: 112
    .language:       OpenCL C
    .language_version:
      - 2
      - 0
    .max_flat_workgroup_size: 1024
    .name:           _Z36sgd_k128_kernel_hogwild_warp32_lratePK7mf_nodexP6__halfS3_PjPKfxxiiiiiiffiiii
    .private_segment_fixed_size: 0
    .sgpr_count:     45
    .sgpr_spill_count: 0
    .symbol:         _Z36sgd_k128_kernel_hogwild_warp32_lratePK7mf_nodexP6__halfS3_PjPKfxxiiiiiiffiiii.kd
    .uniform_work_group_size: 1
    .uses_dynamic_stack: false
    .vgpr_count:     34
    .vgpr_spill_count: 0
    .wavefront_size: 32
  - .args:
      - .offset:         0
        .size:           4
        .value_kind:     by_value
      - .address_space:  global
        .offset:         8
        .size:           8
        .value_kind:     global_buffer
      - .offset:         16
        .size:           4
        .value_kind:     by_value
      - .offset:         24
        .size:           4
        .value_kind:     hidden_block_count_x
      - .offset:         28
        .size:           4
        .value_kind:     hidden_block_count_y
      - .offset:         32
        .size:           4
        .value_kind:     hidden_block_count_z
      - .offset:         36
        .size:           2
        .value_kind:     hidden_group_size_x
      - .offset:         38
        .size:           2
        .value_kind:     hidden_group_size_y
      - .offset:         40
        .size:           2
        .value_kind:     hidden_group_size_z
      - .offset:         42
        .size:           2
        .value_kind:     hidden_remainder_x
      - .offset:         44
        .size:           2
        .value_kind:     hidden_remainder_y
      - .offset:         46
        .size:           2
        .value_kind:     hidden_remainder_z
      - .offset:         64
        .size:           8
        .value_kind:     hidden_global_offset_x
      - .offset:         72
        .size:           8
        .value_kind:     hidden_global_offset_y
      - .offset:         80
        .size:           8
        .value_kind:     hidden_global_offset_z
      - .offset:         88
        .size:           2
        .value_kind:     hidden_grid_dims
    .group_segment_fixed_size: 0
    .kernarg_segment_align: 8
    .kernarg_segment_size: 280
    .language:       OpenCL C
    .language_version:
      - 2
      - 0
    .max_flat_workgroup_size: 1024
    .name:           _Z15init_rand_statejPji
    .private_segment_fixed_size: 0
    .sgpr_count:     8
    .sgpr_spill_count: 0
    .symbol:         _Z15init_rand_statejPji.kd
    .uniform_work_group_size: 1
    .uses_dynamic_stack: false
    .vgpr_count:     2
    .vgpr_spill_count: 0
    .wavefront_size: 32
  - .args:
      - .actual_access:  read_only
        .address_space:  global
        .offset:         0
        .size:           8
        .value_kind:     global_buffer
      - .actual_access:  write_only
        .address_space:  global
        .offset:         8
        .size:           8
        .value_kind:     global_buffer
      - .offset:         16
        .size:           8
        .value_kind:     by_value
      - .offset:         24
        .size:           4
        .value_kind:     hidden_block_count_x
      - .offset:         28
        .size:           4
        .value_kind:     hidden_block_count_y
      - .offset:         32
        .size:           4
        .value_kind:     hidden_block_count_z
      - .offset:         36
        .size:           2
        .value_kind:     hidden_group_size_x
      - .offset:         38
        .size:           2
        .value_kind:     hidden_group_size_y
      - .offset:         40
        .size:           2
        .value_kind:     hidden_group_size_z
      - .offset:         42
        .size:           2
        .value_kind:     hidden_remainder_x
      - .offset:         44
        .size:           2
        .value_kind:     hidden_remainder_y
      - .offset:         46
        .size:           2
        .value_kind:     hidden_remainder_z
      - .offset:         64
        .size:           8
        .value_kind:     hidden_global_offset_x
      - .offset:         72
        .size:           8
        .value_kind:     hidden_global_offset_y
      - .offset:         80
        .size:           8
        .value_kind:     hidden_global_offset_z
      - .offset:         88
        .size:           2
        .value_kind:     hidden_grid_dims
    .group_segment_fixed_size: 0
    .kernarg_segment_align: 8
    .kernarg_segment_size: 280
    .language:       OpenCL C
    .language_version:
      - 2
      - 0
    .max_flat_workgroup_size: 1024
    .name:           _Z14transform_halfPK6__halfPfx
    .private_segment_fixed_size: 0
    .sgpr_count:     22
    .sgpr_spill_count: 0
    .symbol:         _Z14transform_halfPK6__halfPfx.kd
    .uniform_work_group_size: 1
    .uses_dynamic_stack: false
    .vgpr_count:     16
    .vgpr_spill_count: 0
    .wavefront_size: 32
amdhsa.target:   amdgcn-amd-amdhsa--gfx1250
amdhsa.version:
  - 1
  - 2
...

	.end_amdgpu_metadata
